;; amdgpu-corpus repo=ROCm/rocFFT kind=compiled arch=gfx906 opt=O3
	.text
	.amdgcn_target "amdgcn-amd-amdhsa--gfx906"
	.amdhsa_code_object_version 6
	.protected	bluestein_single_fwd_len980_dim1_dp_op_CI_CI ; -- Begin function bluestein_single_fwd_len980_dim1_dp_op_CI_CI
	.globl	bluestein_single_fwd_len980_dim1_dp_op_CI_CI
	.p2align	8
	.type	bluestein_single_fwd_len980_dim1_dp_op_CI_CI,@function
bluestein_single_fwd_len980_dim1_dp_op_CI_CI: ; @bluestein_single_fwd_len980_dim1_dp_op_CI_CI
; %bb.0:
	s_load_dwordx4 s[0:3], s[4:5], 0x28
	v_mul_u32_u24_e32 v1, 0x14f, v0
	v_add_u32_sdwa v96, s6, v1 dst_sel:DWORD dst_unused:UNUSED_PAD src0_sel:DWORD src1_sel:WORD_1
	v_mov_b32_e32 v97, 0
	s_waitcnt lgkmcnt(0)
	v_cmp_gt_u64_e32 vcc, s[0:1], v[96:97]
	s_and_saveexec_b64 s[0:1], vcc
	s_cbranch_execz .LBB0_31
; %bb.1:
	s_load_dwordx2 s[14:15], s[4:5], 0x0
	s_load_dwordx2 s[12:13], s[4:5], 0x38
	s_movk_i32 s0, 0xc4
	v_mul_lo_u16_sdwa v1, v1, s0 dst_sel:DWORD dst_unused:UNUSED_PAD src0_sel:WORD_1 src1_sel:DWORD
	v_sub_u16_e32 v121, v0, v1
	s_movk_i32 s0, 0x8c
	v_cmp_gt_u16_e64 s[0:1], s0, v121
	v_lshlrev_b32_e32 v122, 4, v121
	s_and_saveexec_b64 s[6:7], s[0:1]
	s_cbranch_execz .LBB0_3
; %bb.2:
	s_load_dwordx2 s[8:9], s[4:5], 0x18
	s_waitcnt lgkmcnt(0)
	s_load_dwordx4 s[8:11], s[8:9], 0x0
	s_waitcnt lgkmcnt(0)
	v_mad_u64_u32 v[0:1], s[16:17], s10, v96, 0
	v_mad_u64_u32 v[2:3], s[16:17], s8, v121, 0
	;; [unrolled: 1-line block ×4, first 2 shown]
	v_mov_b32_e32 v1, v4
	v_lshlrev_b64 v[0:1], 4, v[0:1]
	v_mov_b32_e32 v3, v5
	v_mov_b32_e32 v6, s3
	v_lshlrev_b64 v[2:3], 4, v[2:3]
	v_add_co_u32_e32 v0, vcc, s2, v0
	v_addc_co_u32_e32 v1, vcc, v6, v1, vcc
	v_add_co_u32_e32 v12, vcc, v0, v2
	s_mul_i32 s3, s9, 0x8c0
	s_mul_hi_u32 s9, s8, 0x8c0
	v_addc_co_u32_e32 v13, vcc, v1, v3, vcc
	s_mul_i32 s2, s8, 0x8c0
	s_add_i32 s3, s9, s3
	v_mov_b32_e32 v4, s3
	v_add_co_u32_e32 v36, vcc, s2, v12
	v_addc_co_u32_e32 v37, vcc, v13, v4, vcc
	global_load_dwordx4 v[0:3], v122, s[14:15] offset:2240
	global_load_dwordx4 v[4:7], v[12:13], off
	global_load_dwordx4 v[8:11], v[36:37], off
	v_mov_b32_e32 v12, s15
	v_add_co_u32_e32 v13, vcc, s14, v122
	s_movk_i32 s8, 0x1000
	v_addc_co_u32_e32 v12, vcc, 0, v12, vcc
	v_add_co_u32_e32 v38, vcc, s8, v13
	s_movk_i32 s9, 0x2000
	v_addc_co_u32_e32 v39, vcc, 0, v12, vcc
	;; [unrolled: 3-line block ×3, first 2 shown]
	v_add_co_u32_e32 v42, vcc, s10, v13
	v_addc_co_u32_e32 v43, vcc, 0, v12, vcc
	global_load_dwordx4 v[12:15], v[38:39], off offset:384
	global_load_dwordx4 v[16:19], v[38:39], off offset:2624
	global_load_dwordx4 v[20:23], v[40:41], off offset:768
	global_load_dwordx4 v[24:27], v[40:41], off offset:3008
	global_load_dwordx4 v[28:31], v122, s[14:15]
	global_load_dwordx4 v[32:35], v[42:43], off offset:1152
	v_mov_b32_e32 v38, s3
	v_add_co_u32_e32 v40, vcc, s2, v36
	v_addc_co_u32_e32 v41, vcc, v37, v38, vcc
	v_mov_b32_e32 v42, s3
	v_add_co_u32_e32 v48, vcc, s2, v40
	v_addc_co_u32_e32 v49, vcc, v41, v42, vcc
	;; [unrolled: 3-line block ×3, first 2 shown]
	v_mov_b32_e32 v53, s3
	global_load_dwordx4 v[36:39], v[40:41], off
	v_add_co_u32_e32 v52, vcc, s2, v50
	v_addc_co_u32_e32 v53, vcc, v51, v53, vcc
	v_mov_b32_e32 v54, s3
	global_load_dwordx4 v[40:43], v[48:49], off
	global_load_dwordx4 v[44:47], v[50:51], off
	s_waitcnt vmcnt(9)
	v_mul_f64 v[58:59], v[10:11], v[2:3]
	global_load_dwordx4 v[48:51], v[52:53], off
	v_add_co_u32_e32 v52, vcc, s2, v52
	v_addc_co_u32_e32 v53, vcc, v53, v54, vcc
	global_load_dwordx4 v[52:55], v[52:53], off
	v_mul_f64 v[60:61], v[8:9], v[2:3]
	s_waitcnt vmcnt(6)
	v_mul_f64 v[56:57], v[6:7], v[30:31]
	v_mul_f64 v[30:31], v[4:5], v[30:31]
	v_fma_f64 v[2:3], v[4:5], v[28:29], v[56:57]
	v_fma_f64 v[4:5], v[6:7], v[28:29], -v[30:31]
	v_fma_f64 v[6:7], v[8:9], v[0:1], v[58:59]
	v_fma_f64 v[8:9], v[10:11], v[0:1], -v[60:61]
	s_waitcnt vmcnt(4)
	v_mul_f64 v[62:63], v[38:39], v[14:15]
	v_mul_f64 v[14:15], v[36:37], v[14:15]
	s_waitcnt vmcnt(3)
	v_mul_f64 v[64:65], v[42:43], v[18:19]
	v_mul_f64 v[18:19], v[40:41], v[18:19]
	;; [unrolled: 3-line block ×3, first 2 shown]
	v_fma_f64 v[10:11], v[36:37], v[12:13], v[62:63]
	v_fma_f64 v[12:13], v[38:39], v[12:13], -v[14:15]
	v_fma_f64 v[14:15], v[40:41], v[16:17], v[64:65]
	v_fma_f64 v[16:17], v[42:43], v[16:17], -v[18:19]
	;; [unrolled: 2-line block ×3, first 2 shown]
	s_waitcnt vmcnt(1)
	v_mul_f64 v[68:69], v[50:51], v[26:27]
	v_mul_f64 v[26:27], v[48:49], v[26:27]
	s_waitcnt vmcnt(0)
	v_mul_f64 v[70:71], v[54:55], v[34:35]
	v_mul_f64 v[34:35], v[52:53], v[34:35]
	v_fma_f64 v[22:23], v[48:49], v[24:25], v[68:69]
	v_fma_f64 v[24:25], v[50:51], v[24:25], -v[26:27]
	v_fma_f64 v[26:27], v[52:53], v[32:33], v[70:71]
	v_fma_f64 v[28:29], v[54:55], v[32:33], -v[34:35]
	ds_write_b128 v122, v[2:5]
	ds_write_b128 v122, v[6:9] offset:2240
	ds_write_b128 v122, v[10:13] offset:4480
	;; [unrolled: 1-line block ×6, first 2 shown]
.LBB0_3:
	s_or_b64 exec, exec, s[6:7]
	s_load_dwordx2 s[2:3], s[4:5], 0x20
	s_load_dwordx2 s[8:9], s[4:5], 0x8
	s_waitcnt lgkmcnt(0)
	s_barrier
	s_waitcnt lgkmcnt(0)
                                        ; implicit-def: $vgpr0_vgpr1
                                        ; implicit-def: $vgpr8_vgpr9
                                        ; implicit-def: $vgpr16_vgpr17
                                        ; implicit-def: $vgpr24_vgpr25
                                        ; implicit-def: $vgpr20_vgpr21
                                        ; implicit-def: $vgpr12_vgpr13
                                        ; implicit-def: $vgpr4_vgpr5
	s_and_saveexec_b64 s[4:5], s[0:1]
	s_cbranch_execz .LBB0_5
; %bb.4:
	ds_read_b128 v[0:3], v122
	ds_read_b128 v[4:7], v122 offset:2240
	ds_read_b128 v[12:15], v122 offset:4480
	;; [unrolled: 1-line block ×6, first 2 shown]
.LBB0_5:
	s_or_b64 exec, exec, s[4:5]
	s_waitcnt lgkmcnt(0)
	v_add_f64 v[28:29], v[24:25], v[4:5]
	v_add_f64 v[30:31], v[26:27], v[6:7]
	;; [unrolled: 1-line block ×4, first 2 shown]
	v_add_f64 v[12:13], v[12:13], -v[20:21]
	v_add_f64 v[14:15], v[14:15], -v[22:23]
	v_add_f64 v[20:21], v[8:9], v[16:17]
	v_add_f64 v[22:23], v[10:11], v[18:19]
	v_add_f64 v[18:19], v[18:19], -v[10:11]
	v_add_f64 v[16:17], v[16:17], -v[8:9]
	v_add_f64 v[36:37], v[32:33], v[28:29]
	v_add_f64 v[38:39], v[34:35], v[30:31]
	v_add_f64 v[24:25], v[4:5], -v[24:25]
	v_add_f64 v[26:27], v[6:7], -v[26:27]
	;; [unrolled: 1-line block ×7, first 2 shown]
	v_add_f64 v[34:35], v[18:19], v[14:15]
	v_add_f64 v[40:41], v[16:17], -v[12:13]
	v_add_f64 v[42:43], v[18:19], -v[14:15]
	v_add_f64 v[36:37], v[20:21], v[36:37]
	v_add_f64 v[38:39], v[22:23], v[38:39]
	v_add_f64 v[8:9], v[20:21], -v[32:33]
	v_add_f64 v[20:21], v[12:13], -v[24:25]
	;; [unrolled: 1-line block ×3, first 2 shown]
	s_mov_b32 s4, 0x37e14327
	s_mov_b32 s5, 0x3fe948f6
	v_add_f64 v[46:47], v[26:27], -v[18:19]
	v_add_f64 v[14:15], v[34:35], v[26:27]
	v_mul_f64 v[26:27], v[28:29], s[4:5]
	v_mul_f64 v[30:31], v[30:31], s[4:5]
	s_mov_b32 s4, 0xe976ee23
	s_mov_b32 s5, 0xbfe11646
	v_add_f64 v[32:33], v[16:17], v[12:13]
	v_add_f64 v[44:45], v[24:25], -v[16:17]
	v_add_f64 v[0:1], v[0:1], v[36:37]
	v_add_f64 v[2:3], v[2:3], v[38:39]
	v_mul_f64 v[18:19], v[40:41], s[4:5]
	v_mul_f64 v[16:17], v[42:43], s[4:5]
	s_mov_b32 s4, 0x429ad128
	s_mov_b32 s5, 0x3febfeb5
	v_mul_f64 v[28:29], v[20:21], s[4:5]
	v_mul_f64 v[20:21], v[22:23], s[4:5]
	s_mov_b32 s4, 0xaaaaaaaa
	s_mov_b32 s5, 0xbff2aaaa
	v_add_f64 v[12:13], v[32:33], v[24:25]
	s_mov_b32 s6, 0x36b3c0b5
	v_fma_f64 v[22:23], v[36:37], s[4:5], v[0:1]
	v_fma_f64 v[24:25], v[38:39], s[4:5], v[2:3]
	s_mov_b32 s5, 0x3fd5d0dc
	s_mov_b32 s4, 0xb247c609
	;; [unrolled: 1-line block ×5, first 2 shown]
	v_fma_f64 v[40:41], v[44:45], s[4:5], v[18:19]
	v_fma_f64 v[42:43], v[46:47], s[4:5], v[16:17]
	s_mov_b32 s5, 0xbfd5d0dc
	v_fma_f64 v[32:33], v[8:9], s[6:7], v[26:27]
	v_fma_f64 v[34:35], v[10:11], s[6:7], v[30:31]
	v_fma_f64 v[36:37], v[4:5], s[10:11], -v[26:27]
	v_fma_f64 v[38:39], v[6:7], s[10:11], -v[30:31]
	;; [unrolled: 1-line block ×4, first 2 shown]
	s_mov_b32 s16, 0x37c3f68c
	s_mov_b32 s17, 0x3fdc38aa
	v_add_f64 v[26:27], v[32:33], v[22:23]
	v_add_f64 v[30:31], v[34:35], v[24:25]
	;; [unrolled: 1-line block ×4, first 2 shown]
	v_fma_f64 v[48:49], v[14:15], s[16:17], v[46:47]
	v_fma_f64 v[50:51], v[12:13], s[16:17], v[44:45]
	;; [unrolled: 1-line block ×4, first 2 shown]
	v_mul_lo_u16_e32 v125, 7, v121
	s_barrier
	v_add_f64 v[40:41], v[32:33], -v[48:49]
	v_add_f64 v[42:43], v[50:51], v[36:37]
	v_add_f64 v[44:45], v[26:27], -v[34:35]
	v_add_f64 v[46:47], v[38:39], v[30:31]
	s_and_saveexec_b64 s[4:5], s[0:1]
	s_cbranch_execz .LBB0_7
; %bb.6:
	s_mov_b32 s11, 0x3fe77f67
	v_mul_f64 v[10:11], v[10:11], s[6:7]
	v_mul_f64 v[6:7], v[6:7], s[10:11]
	v_mul_f64 v[8:9], v[8:9], s[6:7]
	v_mul_f64 v[4:5], v[4:5], s[10:11]
	v_mul_f64 v[12:13], v[12:13], s[16:17]
	v_mul_f64 v[14:15], v[14:15], s[16:17]
	v_add_f64 v[18:19], v[28:29], -v[18:19]
	v_add_f64 v[6:7], v[6:7], -v[10:11]
	;; [unrolled: 1-line block ×4, first 2 shown]
	v_add_f64 v[8:9], v[26:27], v[34:35]
	v_add_f64 v[12:13], v[12:13], v[18:19]
	;; [unrolled: 1-line block ×5, first 2 shown]
	v_add_f64 v[10:11], v[30:31], -v[38:39]
	v_add_f64 v[6:7], v[36:37], -v[50:51]
	v_add_f64 v[4:5], v[32:33], v[48:49]
	v_add_f64 v[14:15], v[16:17], -v[12:13]
	v_add_f64 v[18:19], v[12:13], v[16:17]
	;; [unrolled: 2-line block ×3, first 2 shown]
	v_lshlrev_b32_e32 v20, 4, v125
	ds_write_b128 v20, v[0:3]
	ds_write_b128 v20, v[40:43] offset:80
	ds_write_b128 v20, v[8:11] offset:16
	;; [unrolled: 1-line block ×6, first 2 shown]
.LBB0_7:
	s_or_b64 exec, exec, s[4:5]
	v_mov_b32_e32 v0, 37
	v_mul_lo_u16_sdwa v0, v121, v0 dst_sel:DWORD dst_unused:UNUSED_PAD src0_sel:BYTE_0 src1_sel:DWORD
	v_sub_u16_sdwa v1, v121, v0 dst_sel:DWORD dst_unused:UNUSED_PAD src0_sel:DWORD src1_sel:BYTE_1
	v_lshrrev_b16_e32 v1, 1, v1
	v_and_b32_e32 v1, 0x7f, v1
	v_add_u16_sdwa v0, v1, v0 dst_sel:DWORD dst_unused:UNUSED_PAD src0_sel:DWORD src1_sel:BYTE_1
	v_lshrrev_b16_e32 v60, 2, v0
	v_mul_lo_u16_e32 v0, 7, v60
	v_sub_u16_e32 v0, v121, v0
	v_and_b32_e32 v61, 0xff, v0
	v_lshlrev_b32_e32 v16, 6, v61
	s_load_dwordx4 s[4:7], s[2:3], 0x0
	s_waitcnt lgkmcnt(0)
	s_barrier
	global_load_dwordx4 v[12:15], v16, s[8:9]
	global_load_dwordx4 v[8:11], v16, s[8:9] offset:16
	global_load_dwordx4 v[4:7], v16, s[8:9] offset:32
	;; [unrolled: 1-line block ×3, first 2 shown]
	ds_read_b128 v[16:19], v122
	ds_read_b128 v[20:23], v122 offset:3136
	ds_read_b128 v[24:27], v122 offset:6272
	ds_read_b128 v[28:31], v122 offset:9408
	ds_read_b128 v[32:35], v122 offset:12544
	s_mov_b32 s16, 0x134454ff
	s_mov_b32 s17, 0x3fee6f0e
	;; [unrolled: 1-line block ×10, first 2 shown]
	s_waitcnt vmcnt(0) lgkmcnt(0)
	s_barrier
	v_mul_f64 v[36:37], v[22:23], v[14:15]
	v_mul_f64 v[38:39], v[20:21], v[14:15]
	;; [unrolled: 1-line block ×8, first 2 shown]
	v_fma_f64 v[20:21], v[20:21], v[12:13], -v[36:37]
	v_fma_f64 v[22:23], v[22:23], v[12:13], v[38:39]
	v_fma_f64 v[24:25], v[24:25], v[8:9], -v[48:49]
	v_fma_f64 v[28:29], v[28:29], v[4:5], -v[50:51]
	v_fma_f64 v[26:27], v[26:27], v[8:9], v[52:53]
	v_fma_f64 v[32:33], v[32:33], v[0:1], -v[54:55]
	v_fma_f64 v[30:31], v[30:31], v[4:5], v[56:57]
	v_fma_f64 v[34:35], v[34:35], v[0:1], v[58:59]
	v_mul_u32_u24_e32 v36, 35, v60
	v_add_lshl_u32 v126, v36, v61, 4
	v_add_f64 v[36:37], v[16:17], v[20:21]
	v_add_f64 v[38:39], v[24:25], v[28:29]
	;; [unrolled: 1-line block ×6, first 2 shown]
	v_add_f64 v[48:49], v[20:21], -v[24:25]
	v_add_f64 v[58:59], v[24:25], -v[20:21]
	;; [unrolled: 1-line block ×8, first 2 shown]
	v_fma_f64 v[38:39], v[38:39], -0.5, v[16:17]
	v_fma_f64 v[16:17], v[50:51], -0.5, v[16:17]
	v_add_f64 v[24:25], v[36:37], v[24:25]
	v_fma_f64 v[36:37], v[52:53], -0.5, v[18:19]
	v_fma_f64 v[18:19], v[54:55], -0.5, v[18:19]
	v_add_f64 v[26:27], v[62:63], v[26:27]
	v_add_f64 v[56:57], v[32:33], -v[28:29]
	v_add_f64 v[60:61], v[28:29], -v[32:33]
	;; [unrolled: 1-line block ×4, first 2 shown]
	v_add_f64 v[24:25], v[24:25], v[28:29]
	v_fma_f64 v[28:29], v[22:23], s[16:17], v[38:39]
	v_fma_f64 v[38:39], v[22:23], s[20:21], v[38:39]
	;; [unrolled: 1-line block ×4, first 2 shown]
	v_add_f64 v[26:27], v[26:27], v[30:31]
	v_fma_f64 v[30:31], v[20:21], s[20:21], v[36:37]
	v_fma_f64 v[36:37], v[20:21], s[16:17], v[36:37]
	v_fma_f64 v[52:53], v[74:75], s[16:17], v[18:19]
	v_fma_f64 v[18:19], v[74:75], s[20:21], v[18:19]
	v_add_f64 v[54:55], v[48:49], v[56:57]
	v_add_f64 v[58:59], v[58:59], v[60:61]
	;; [unrolled: 1-line block ×5, first 2 shown]
	v_fma_f64 v[24:25], v[72:73], s[2:3], v[28:29]
	v_fma_f64 v[28:29], v[72:73], s[18:19], v[38:39]
	;; [unrolled: 1-line block ×4, first 2 shown]
	v_add_f64 v[50:51], v[26:27], v[34:35]
	v_fma_f64 v[22:23], v[74:75], s[18:19], v[30:31]
	v_fma_f64 v[26:27], v[20:21], s[18:19], v[52:53]
	;; [unrolled: 1-line block ×12, first 2 shown]
	ds_write_b128 v126, v[48:51]
	ds_write_b128 v126, v[52:55] offset:112
	ds_write_b128 v126, v[56:59] offset:224
	;; [unrolled: 1-line block ×4, first 2 shown]
	s_waitcnt lgkmcnt(0)
	s_barrier
	s_and_saveexec_b64 s[2:3], s[0:1]
	s_cbranch_execz .LBB0_9
; %bb.8:
	ds_read_b128 v[48:51], v122
	ds_read_b128 v[52:55], v122 offset:2240
	ds_read_b128 v[56:59], v122 offset:4480
	;; [unrolled: 1-line block ×6, first 2 shown]
.LBB0_9:
	s_or_b64 exec, exec, s[2:3]
	s_movk_i32 s2, 0xeb
	v_mul_lo_u16_sdwa v16, v121, s2 dst_sel:DWORD dst_unused:UNUSED_PAD src0_sel:BYTE_0 src1_sel:DWORD
	v_lshrrev_b16_e32 v123, 13, v16
	v_mul_lo_u16_e32 v16, 35, v123
	v_sub_u16_e32 v16, v121, v16
	v_and_b32_e32 v124, 0xff, v16
	v_mov_b32_e32 v17, s9
	s_movk_i32 s2, 0x60
	v_mov_b32_e32 v16, s8
	v_mad_u64_u32 v[68:69], s[2:3], v124, s2, v[16:17]
	global_load_dwordx4 v[28:31], v[68:69], off offset:448
	global_load_dwordx4 v[24:27], v[68:69], off offset:464
	;; [unrolled: 1-line block ×6, first 2 shown]
	s_mov_b32 s10, 0x37e14327
	s_mov_b32 s2, 0x36b3c0b5
	;; [unrolled: 1-line block ×16, first 2 shown]
	s_waitcnt vmcnt(0) lgkmcnt(0)
	s_barrier
	v_mul_f64 v[68:69], v[54:55], v[30:31]
	v_mul_f64 v[70:71], v[52:53], v[30:31]
	;; [unrolled: 1-line block ×12, first 2 shown]
	v_fma_f64 v[52:53], v[52:53], v[28:29], -v[68:69]
	v_fma_f64 v[54:55], v[54:55], v[28:29], v[70:71]
	v_fma_f64 v[56:57], v[56:57], v[24:25], -v[72:73]
	v_fma_f64 v[58:59], v[58:59], v[24:25], v[74:75]
	;; [unrolled: 2-line block ×6, first 2 shown]
	v_add_f64 v[68:69], v[52:53], v[44:45]
	v_add_f64 v[70:71], v[54:55], v[46:47]
	v_add_f64 v[44:45], v[52:53], -v[44:45]
	v_add_f64 v[46:47], v[54:55], -v[46:47]
	v_add_f64 v[52:53], v[56:57], v[40:41]
	v_add_f64 v[54:55], v[58:59], v[42:43]
	v_add_f64 v[40:41], v[56:57], -v[40:41]
	v_add_f64 v[42:43], v[58:59], -v[42:43]
	v_add_f64 v[56:57], v[60:61], v[64:65]
	v_add_f64 v[58:59], v[62:63], v[66:67]
	v_add_f64 v[60:61], v[64:65], -v[60:61]
	v_add_f64 v[62:63], v[66:67], -v[62:63]
	v_add_f64 v[64:65], v[52:53], v[68:69]
	v_add_f64 v[66:67], v[54:55], v[70:71]
	v_add_f64 v[72:73], v[52:53], -v[68:69]
	v_add_f64 v[74:75], v[54:55], -v[70:71]
	v_add_f64 v[68:69], v[68:69], -v[56:57]
	v_add_f64 v[70:71], v[70:71], -v[58:59]
	v_add_f64 v[52:53], v[56:57], -v[52:53]
	v_add_f64 v[54:55], v[58:59], -v[54:55]
	v_add_f64 v[76:77], v[60:61], v[40:41]
	v_add_f64 v[78:79], v[62:63], v[42:43]
	v_add_f64 v[80:81], v[60:61], -v[40:41]
	v_add_f64 v[82:83], v[62:63], -v[42:43]
	;; [unrolled: 1-line block ×4, first 2 shown]
	v_add_f64 v[56:57], v[56:57], v[64:65]
	v_add_f64 v[58:59], v[58:59], v[66:67]
	v_add_f64 v[60:61], v[44:45], -v[60:61]
	v_add_f64 v[62:63], v[46:47], -v[62:63]
	v_add_f64 v[64:65], v[76:77], v[44:45]
	v_add_f64 v[66:67], v[78:79], v[46:47]
	v_mul_f64 v[44:45], v[68:69], s[10:11]
	v_mul_f64 v[46:47], v[70:71], s[10:11]
	;; [unrolled: 1-line block ×8, first 2 shown]
	v_add_f64 v[40:41], v[48:49], v[56:57]
	v_add_f64 v[42:43], v[50:51], v[58:59]
	v_fma_f64 v[88:89], v[52:53], s[2:3], v[44:45]
	v_fma_f64 v[90:91], v[54:55], s[2:3], v[46:47]
	v_fma_f64 v[50:51], v[72:73], s[22:23], -v[68:69]
	v_fma_f64 v[54:55], v[74:75], s[22:23], -v[70:71]
	s_mov_b32 s23, 0xbfe77f67
	v_fma_f64 v[48:49], v[60:61], s[24:25], v[76:77]
	v_fma_f64 v[52:53], v[62:63], s[24:25], v[78:79]
	s_mov_b32 s25, 0xbfd5d0dc
	v_fma_f64 v[68:69], v[84:85], s[16:17], -v[76:77]
	v_fma_f64 v[70:71], v[86:87], s[16:17], -v[78:79]
	;; [unrolled: 1-line block ×6, first 2 shown]
	v_fma_f64 v[56:57], v[56:57], s[18:19], v[40:41]
	v_fma_f64 v[80:81], v[58:59], s[18:19], v[42:43]
	;; [unrolled: 1-line block ×8, first 2 shown]
	v_add_f64 v[50:51], v[50:51], v[56:57]
	v_add_f64 v[78:79], v[54:55], v[80:81]
	;; [unrolled: 1-line block ×7, first 2 shown]
	v_add_f64 v[66:67], v[78:79], -v[62:63]
	v_add_f64 v[68:69], v[54:55], -v[52:53]
	v_add_f64 v[70:71], v[58:59], v[76:77]
	v_add_f64 v[72:73], v[56:57], -v[44:45]
	v_add_f64 v[74:75], v[48:49], v[60:61]
	s_and_saveexec_b64 s[2:3], s[0:1]
	s_cbranch_execz .LBB0_11
; %bb.10:
	v_add_f64 v[62:63], v[62:63], v[78:79]
	v_add_f64 v[58:59], v[76:77], -v[58:59]
	v_add_f64 v[78:79], v[60:61], -v[48:49]
	v_add_f64 v[76:77], v[44:45], v[56:57]
	v_add_f64 v[56:57], v[52:53], v[54:55]
	v_add_f64 v[60:61], v[50:51], -v[46:47]
	v_mul_u32_u24_e32 v44, 0xf5, v123
	v_add_lshl_u32 v44, v44, v124, 4
	ds_write_b128 v44, v[40:43]
	ds_write_b128 v44, v[76:79] offset:560
	ds_write_b128 v44, v[56:59] offset:1120
	;; [unrolled: 1-line block ×6, first 2 shown]
.LBB0_11:
	s_or_b64 exec, exec, s[2:3]
	s_waitcnt lgkmcnt(0)
	s_barrier
	ds_read_b128 v[76:79], v122
	ds_read_b128 v[48:51], v122 offset:3920
	ds_read_b128 v[44:47], v122 offset:7840
	;; [unrolled: 1-line block ×3, first 2 shown]
	v_cmp_gt_u16_e64 s[2:3], 49, v121
                                        ; implicit-def: $vgpr80_vgpr81
	s_and_saveexec_b64 s[10:11], s[2:3]
	s_cbranch_execz .LBB0_13
; %bb.12:
	ds_read_b128 v[64:67], v122 offset:3136
	ds_read_b128 v[68:71], v122 offset:7056
	;; [unrolled: 1-line block ×4, first 2 shown]
.LBB0_13:
	s_or_b64 exec, exec, s[10:11]
	v_mad_u64_u32 v[84:85], s[10:11], v121, 48, s[8:9]
	v_add_u32_e32 v97, 0xc4, v121
	global_load_dwordx4 v[52:55], v[84:85], off offset:3840
	global_load_dwordx4 v[56:59], v[84:85], off offset:3824
	;; [unrolled: 1-line block ×3, first 2 shown]
	s_waitcnt vmcnt(0) lgkmcnt(2)
	v_mul_f64 v[84:85], v[50:51], v[62:63]
	v_fma_f64 v[84:85], v[48:49], v[60:61], -v[84:85]
	v_mul_f64 v[48:49], v[48:49], v[62:63]
	v_fma_f64 v[86:87], v[50:51], v[60:61], v[48:49]
	s_waitcnt lgkmcnt(1)
	v_mul_f64 v[48:49], v[46:47], v[58:59]
	v_fma_f64 v[88:89], v[44:45], v[56:57], -v[48:49]
	v_mul_f64 v[44:45], v[44:45], v[58:59]
	v_fma_f64 v[90:91], v[46:47], v[56:57], v[44:45]
	s_waitcnt lgkmcnt(0)
	v_mul_f64 v[44:45], v[42:43], v[54:55]
	v_fma_f64 v[92:93], v[40:41], v[52:53], -v[44:45]
	v_mul_f64 v[40:41], v[40:41], v[54:55]
	v_fma_f64 v[94:95], v[42:43], v[52:53], v[40:41]
	v_subrev_u32_e32 v40, 49, v121
	v_cndmask_b32_e64 v40, v40, v97, s[2:3]
	v_mul_hi_i32_i24_e32 v41, 48, v40
	v_mul_i32_i24_e32 v40, 48, v40
	v_add_co_u32_e32 v97, vcc, s8, v40
	v_mov_b32_e32 v40, s9
	v_addc_co_u32_e32 v98, vcc, v40, v41, vcc
	global_load_dwordx4 v[40:43], v[97:98], off offset:3840
	global_load_dwordx4 v[44:47], v[97:98], off offset:3824
	;; [unrolled: 1-line block ×3, first 2 shown]
	s_waitcnt vmcnt(0)
	v_mul_f64 v[97:98], v[70:71], v[50:51]
	v_fma_f64 v[97:98], v[68:69], v[48:49], -v[97:98]
	v_mul_f64 v[68:69], v[68:69], v[50:51]
	v_fma_f64 v[99:100], v[70:71], v[48:49], v[68:69]
	v_mul_f64 v[68:69], v[74:75], v[46:47]
	v_fma_f64 v[101:102], v[72:73], v[44:45], -v[68:69]
	v_mul_f64 v[68:69], v[72:73], v[46:47]
	v_add_f64 v[72:73], v[76:77], -v[88:89]
	v_fma_f64 v[103:104], v[74:75], v[44:45], v[68:69]
	v_mul_f64 v[68:69], v[82:83], v[42:43]
	v_add_f64 v[74:75], v[78:79], -v[90:91]
	v_fma_f64 v[105:106], v[80:81], v[40:41], -v[68:69]
	v_mul_f64 v[68:69], v[80:81], v[42:43]
	v_add_f64 v[80:81], v[86:87], -v[94:95]
	v_add_f64 v[94:95], v[66:67], -v[103:104]
	v_fma_f64 v[70:71], v[78:79], 2.0, -v[74:75]
	v_fma_f64 v[107:108], v[82:83], v[40:41], v[68:69]
	v_add_f64 v[82:83], v[84:85], -v[92:93]
	v_add_f64 v[92:93], v[64:65], -v[101:102]
	;; [unrolled: 1-line block ×3, first 2 shown]
	v_fma_f64 v[68:69], v[76:77], 2.0, -v[72:73]
	v_fma_f64 v[78:79], v[86:87], 2.0, -v[80:81]
	;; [unrolled: 1-line block ×3, first 2 shown]
	v_add_f64 v[80:81], v[72:73], -v[80:81]
	v_add_f64 v[103:104], v[99:100], -v[107:108]
	v_fma_f64 v[76:77], v[84:85], 2.0, -v[82:83]
	v_fma_f64 v[64:65], v[64:65], 2.0, -v[92:93]
	v_fma_f64 v[84:85], v[97:98], 2.0, -v[101:102]
	v_add_f64 v[82:83], v[74:75], v[82:83]
	v_add_f64 v[78:79], v[70:71], -v[78:79]
	v_fma_f64 v[72:73], v[72:73], 2.0, -v[80:81]
	v_fma_f64 v[86:87], v[99:100], 2.0, -v[103:104]
	v_add_f64 v[76:77], v[68:69], -v[76:77]
	v_add_f64 v[88:89], v[64:65], -v[84:85]
	v_fma_f64 v[74:75], v[74:75], 2.0, -v[82:83]
	v_fma_f64 v[70:71], v[70:71], 2.0, -v[78:79]
	v_add_f64 v[90:91], v[66:67], -v[86:87]
	v_fma_f64 v[68:69], v[68:69], 2.0, -v[76:77]
	ds_write_b128 v122, v[68:71]
	ds_write_b128 v122, v[72:75] offset:3920
	ds_write_b128 v122, v[76:79] offset:7840
	;; [unrolled: 1-line block ×3, first 2 shown]
	v_fma_f64 v[84:85], v[64:65], 2.0, -v[88:89]
	v_fma_f64 v[86:87], v[66:67], 2.0, -v[90:91]
	v_add_f64 v[64:65], v[92:93], -v[103:104]
	v_add_f64 v[66:67], v[94:95], v[101:102]
	v_fma_f64 v[92:93], v[92:93], 2.0, -v[64:65]
	v_fma_f64 v[94:95], v[94:95], 2.0, -v[66:67]
	s_and_saveexec_b64 s[8:9], s[2:3]
	s_cbranch_execz .LBB0_15
; %bb.14:
	ds_write_b128 v122, v[84:87] offset:3136
	ds_write_b128 v122, v[92:95] offset:7056
	;; [unrolled: 1-line block ×4, first 2 shown]
.LBB0_15:
	s_or_b64 exec, exec, s[8:9]
	s_waitcnt lgkmcnt(0)
	s_barrier
	s_and_saveexec_b64 s[8:9], s[0:1]
	s_cbranch_execz .LBB0_17
; %bb.16:
	v_add_co_u32_e32 v111, vcc, s14, v122
	v_mov_b32_e32 v97, s15
	v_addc_co_u32_e32 v112, vcc, 0, v97, vcc
	v_add_co_u32_e32 v109, vcc, 0x3d40, v111
	v_addc_co_u32_e32 v110, vcc, 0, v112, vcc
	v_add_co_u32_e32 v101, vcc, 0x3000, v111
	v_addc_co_u32_e32 v102, vcc, 0, v112, vcc
	global_load_dwordx4 v[101:104], v[101:102], off offset:3392
	ds_read_b128 v[97:100], v122
	s_movk_i32 s10, 0x4000
	s_waitcnt vmcnt(0) lgkmcnt(0)
	v_mul_f64 v[105:106], v[99:100], v[103:104]
	v_fma_f64 v[105:106], v[97:98], v[101:102], -v[105:106]
	v_mul_f64 v[97:98], v[97:98], v[103:104]
	v_fma_f64 v[107:108], v[99:100], v[101:102], v[97:98]
	global_load_dwordx4 v[101:104], v[109:110], off offset:2240
	ds_read_b128 v[97:100], v122 offset:2240
	ds_write_b128 v122, v[105:108]
	s_waitcnt vmcnt(0) lgkmcnt(1)
	v_mul_f64 v[105:106], v[99:100], v[103:104]
	v_fma_f64 v[105:106], v[97:98], v[101:102], -v[105:106]
	v_mul_f64 v[97:98], v[97:98], v[103:104]
	v_fma_f64 v[107:108], v[99:100], v[101:102], v[97:98]
	v_add_co_u32_e32 v101, vcc, s10, v111
	v_addc_co_u32_e32 v102, vcc, 0, v112, vcc
	global_load_dwordx4 v[101:104], v[101:102], off offset:3776
	ds_read_b128 v[97:100], v122 offset:4480
	s_movk_i32 s10, 0x5000
	ds_write_b128 v122, v[105:108] offset:2240
	s_waitcnt vmcnt(0) lgkmcnt(1)
	v_mul_f64 v[105:106], v[99:100], v[103:104]
	v_fma_f64 v[105:106], v[97:98], v[101:102], -v[105:106]
	v_mul_f64 v[97:98], v[97:98], v[103:104]
	v_fma_f64 v[107:108], v[99:100], v[101:102], v[97:98]
	v_add_co_u32_e32 v101, vcc, s10, v111
	v_addc_co_u32_e32 v102, vcc, 0, v112, vcc
	global_load_dwordx4 v[101:104], v[101:102], off offset:1920
	ds_read_b128 v[97:100], v122 offset:6720
	s_movk_i32 s10, 0x6000
	ds_write_b128 v122, v[105:108] offset:4480
	v_add_co_u32_e32 v109, vcc, s10, v111
	v_addc_co_u32_e32 v110, vcc, 0, v112, vcc
	s_movk_i32 s10, 0x7000
	s_waitcnt vmcnt(0) lgkmcnt(1)
	v_mul_f64 v[105:106], v[99:100], v[103:104]
	v_fma_f64 v[105:106], v[97:98], v[101:102], -v[105:106]
	v_mul_f64 v[97:98], v[97:98], v[103:104]
	v_fma_f64 v[107:108], v[99:100], v[101:102], v[97:98]
	global_load_dwordx4 v[101:104], v[109:110], off offset:64
	ds_read_b128 v[97:100], v122 offset:8960
	ds_write_b128 v122, v[105:108] offset:6720
	s_waitcnt vmcnt(0) lgkmcnt(1)
	v_mul_f64 v[105:106], v[99:100], v[103:104]
	v_fma_f64 v[105:106], v[97:98], v[101:102], -v[105:106]
	v_mul_f64 v[97:98], v[97:98], v[103:104]
	v_fma_f64 v[107:108], v[99:100], v[101:102], v[97:98]
	global_load_dwordx4 v[101:104], v[109:110], off offset:2304
	ds_read_b128 v[97:100], v122 offset:11200
	ds_write_b128 v122, v[105:108] offset:8960
	s_waitcnt vmcnt(0) lgkmcnt(1)
	v_mul_f64 v[105:106], v[99:100], v[103:104]
	v_fma_f64 v[105:106], v[97:98], v[101:102], -v[105:106]
	v_mul_f64 v[97:98], v[97:98], v[103:104]
	v_fma_f64 v[107:108], v[99:100], v[101:102], v[97:98]
	v_add_co_u32_e32 v101, vcc, s10, v111
	v_addc_co_u32_e32 v102, vcc, 0, v112, vcc
	global_load_dwordx4 v[101:104], v[101:102], off offset:448
	ds_read_b128 v[97:100], v122 offset:13440
	ds_write_b128 v122, v[105:108] offset:11200
	s_waitcnt vmcnt(0) lgkmcnt(1)
	v_mul_f64 v[105:106], v[99:100], v[103:104]
	v_fma_f64 v[105:106], v[97:98], v[101:102], -v[105:106]
	v_mul_f64 v[97:98], v[97:98], v[103:104]
	v_fma_f64 v[107:108], v[99:100], v[101:102], v[97:98]
	ds_write_b128 v122, v[105:108] offset:13440
.LBB0_17:
	s_or_b64 exec, exec, s[8:9]
	s_waitcnt lgkmcnt(0)
	s_barrier
	s_and_saveexec_b64 s[8:9], s[0:1]
	s_cbranch_execz .LBB0_19
; %bb.18:
	ds_read_b128 v[68:71], v122
	ds_read_b128 v[72:75], v122 offset:2240
	ds_read_b128 v[76:79], v122 offset:4480
	;; [unrolled: 1-line block ×6, first 2 shown]
.LBB0_19:
	s_or_b64 exec, exec, s[8:9]
	s_waitcnt lgkmcnt(0)
	v_add_f64 v[97:98], v[88:89], v[72:73]
	v_add_f64 v[99:100], v[90:91], v[74:75]
	v_add_f64 v[72:73], v[72:73], -v[88:89]
	v_add_f64 v[74:75], v[74:75], -v[90:91]
	v_add_f64 v[88:89], v[92:93], v[76:77]
	v_add_f64 v[90:91], v[94:95], v[78:79]
	v_add_f64 v[76:77], v[76:77], -v[92:93]
	v_add_f64 v[78:79], v[78:79], -v[94:95]
	;; [unrolled: 4-line block ×4, first 2 shown]
	v_add_f64 v[97:98], v[97:98], -v[92:93]
	v_add_f64 v[99:100], v[99:100], -v[94:95]
	;; [unrolled: 1-line block ×4, first 2 shown]
	v_add_f64 v[113:114], v[92:93], v[105:106]
	v_add_f64 v[107:108], v[94:95], v[107:108]
	v_add_f64 v[84:85], v[92:93], -v[88:89]
	v_add_f64 v[88:89], v[101:102], v[76:77]
	v_add_f64 v[115:116], v[72:73], -v[101:102]
	v_add_f64 v[101:102], v[76:77], -v[72:73]
	;; [unrolled: 1-line block ×3, first 2 shown]
	s_mov_b32 s8, 0x37e14327
	s_mov_b32 s9, 0x3fe948f6
	v_add_f64 v[86:87], v[94:95], -v[90:91]
	v_add_f64 v[90:91], v[103:104], v[78:79]
	v_add_f64 v[76:77], v[68:69], v[113:114]
	v_add_f64 v[78:79], v[70:71], v[107:108]
	v_mul_f64 v[68:69], v[97:98], s[8:9]
	v_mul_f64 v[70:71], v[99:100], s[8:9]
	s_mov_b32 s8, 0xe976ee23
	s_mov_b32 s9, 0x3fe11646
	v_mul_f64 v[94:95], v[109:110], s[8:9]
	v_mul_f64 v[92:93], v[111:112], s[8:9]
	s_mov_b32 s8, 0x429ad128
	v_add_f64 v[103:104], v[74:75], -v[103:104]
	s_mov_b32 s9, 0xbfebfeb5
	v_mul_f64 v[105:106], v[101:102], s[8:9]
	v_mul_f64 v[97:98], v[117:118], s[8:9]
	s_mov_b32 s8, 0xaaaaaaaa
	s_mov_b32 s9, 0xbff2aaaa
	;; [unrolled: 1-line block ×3, first 2 shown]
	v_fma_f64 v[99:100], v[113:114], s[8:9], v[76:77]
	v_fma_f64 v[101:102], v[107:108], s[8:9], v[78:79]
	s_mov_b32 s9, 0xbfd5d0dc
	s_mov_b32 s8, 0xb247c609
	s_mov_b32 s11, 0x3fac98ee
	s_mov_b32 s16, 0x5476071b
	s_mov_b32 s17, 0xbfe77f67
	v_fma_f64 v[127:128], v[115:116], s[8:9], v[94:95]
	v_fma_f64 v[111:112], v[103:104], s[8:9], v[92:93]
	s_mov_b32 s9, 0x3fd5d0dc
	v_add_f64 v[88:89], v[88:89], v[72:73]
	v_add_f64 v[90:91], v[90:91], v[74:75]
	v_fma_f64 v[72:73], v[84:85], s[10:11], v[68:69]
	v_fma_f64 v[74:75], v[86:87], s[10:11], v[70:71]
	v_fma_f64 v[68:69], v[80:81], s[16:17], -v[68:69]
	v_fma_f64 v[70:71], v[82:83], s[16:17], -v[70:71]
	v_fma_f64 v[117:118], v[103:104], s[8:9], -v[97:98]
	v_fma_f64 v[115:116], v[115:116], s[8:9], -v[105:106]
	s_mov_b32 s18, 0x37c3f68c
	s_mov_b32 s19, 0xbfdc38aa
	v_add_f64 v[103:104], v[72:73], v[99:100]
	v_add_f64 v[107:108], v[74:75], v[101:102]
	;; [unrolled: 1-line block ×4, first 2 shown]
	v_fma_f64 v[117:118], v[90:91], s[18:19], v[117:118]
	v_fma_f64 v[119:120], v[88:89], s[18:19], v[115:116]
	;; [unrolled: 1-line block ×4, first 2 shown]
	s_barrier
	v_add_f64 v[68:69], v[109:110], -v[117:118]
	v_add_f64 v[70:71], v[119:120], v[113:114]
	v_add_f64 v[72:73], v[103:104], -v[111:112]
	v_add_f64 v[74:75], v[115:116], v[107:108]
	s_and_saveexec_b64 s[8:9], s[0:1]
	s_cbranch_execz .LBB0_21
; %bb.20:
	s_mov_b32 s17, 0x3fe77f67
	v_mul_f64 v[86:87], v[86:87], s[10:11]
	v_mul_f64 v[82:83], v[82:83], s[16:17]
	v_mul_f64 v[84:85], v[84:85], s[10:11]
	v_mul_f64 v[80:81], v[80:81], s[16:17]
	v_mul_f64 v[88:89], v[88:89], s[18:19]
	v_mul_f64 v[90:91], v[90:91], s[18:19]
	v_add_f64 v[94:95], v[105:106], -v[94:95]
	v_add_f64 v[82:83], v[82:83], -v[86:87]
	;; [unrolled: 1-line block ×4, first 2 shown]
	v_add_f64 v[84:85], v[103:104], v[111:112]
	v_add_f64 v[88:89], v[88:89], v[94:95]
	;; [unrolled: 1-line block ×5, first 2 shown]
	v_add_f64 v[86:87], v[107:108], -v[115:116]
	v_add_f64 v[82:83], v[113:114], -v[119:120]
	v_add_f64 v[80:81], v[109:110], v[117:118]
	v_add_f64 v[90:91], v[92:93], -v[88:89]
	v_add_f64 v[94:95], v[88:89], v[92:93]
	;; [unrolled: 2-line block ×3, first 2 shown]
	v_lshlrev_b32_e32 v97, 4, v125
	ds_write_b128 v97, v[76:79]
	ds_write_b128 v97, v[68:71] offset:80
	ds_write_b128 v97, v[84:87] offset:16
	;; [unrolled: 1-line block ×6, first 2 shown]
.LBB0_21:
	s_or_b64 exec, exec, s[8:9]
	s_waitcnt lgkmcnt(0)
	s_barrier
	ds_read_b128 v[76:79], v122 offset:6272
	ds_read_b128 v[80:83], v122 offset:9408
	ds_read_b128 v[84:87], v122 offset:3136
	ds_read_b128 v[88:91], v122 offset:12544
	s_mov_b32 s8, 0x134454ff
	s_waitcnt lgkmcnt(3)
	v_mul_f64 v[92:93], v[10:11], v[78:79]
	s_waitcnt lgkmcnt(2)
	v_mul_f64 v[94:95], v[6:7], v[82:83]
	;; [unrolled: 2-line block ×3, first 2 shown]
	v_mul_f64 v[14:15], v[14:15], v[84:85]
	v_mul_f64 v[10:11], v[10:11], v[76:77]
	;; [unrolled: 1-line block ×3, first 2 shown]
	s_mov_b32 s9, 0xbfee6f0e
	s_mov_b32 s10, 0x4755a5e
	v_fma_f64 v[101:102], v[8:9], v[76:77], v[92:93]
	v_fma_f64 v[103:104], v[4:5], v[80:81], v[94:95]
	ds_read_b128 v[92:95], v122
	s_waitcnt lgkmcnt(1)
	v_mul_f64 v[99:100], v[2:3], v[88:89]
	v_mul_f64 v[2:3], v[2:3], v[90:91]
	v_fma_f64 v[76:77], v[12:13], v[84:85], v[97:98]
	v_fma_f64 v[12:13], v[12:13], v[86:87], -v[14:15]
	v_fma_f64 v[8:9], v[8:9], v[78:79], -v[10:11]
	v_fma_f64 v[6:7], v[4:5], v[82:83], -v[6:7]
	v_add_f64 v[80:81], v[101:102], v[103:104]
	s_mov_b32 s11, 0xbfe2cf23
	v_fma_f64 v[14:15], v[0:1], v[90:91], -v[99:100]
	v_fma_f64 v[2:3], v[0:1], v[88:89], v[2:3]
	s_waitcnt lgkmcnt(0)
	v_add_f64 v[0:1], v[92:93], v[76:77]
	s_mov_b32 s19, 0x3fee6f0e
	s_mov_b32 s18, s8
	v_add_f64 v[78:79], v[8:9], -v[6:7]
	v_fma_f64 v[4:5], v[80:81], -0.5, v[92:93]
	v_add_f64 v[80:81], v[76:77], -v[101:102]
	v_add_f64 v[10:11], v[12:13], -v[14:15]
	v_add_f64 v[82:83], v[2:3], -v[103:104]
	v_add_f64 v[84:85], v[76:77], v[2:3]
	v_add_f64 v[0:1], v[0:1], v[101:102]
	;; [unrolled: 1-line block ×3, first 2 shown]
	s_mov_b32 s16, 0x372fe950
	s_mov_b32 s17, 0x3fd3c6ef
	;; [unrolled: 1-line block ×3, first 2 shown]
	v_fma_f64 v[86:87], v[10:11], s[8:9], v[4:5]
	v_add_f64 v[80:81], v[80:81], v[82:83]
	v_fma_f64 v[82:83], v[84:85], -0.5, v[92:93]
	v_add_f64 v[0:1], v[0:1], v[103:104]
	v_fma_f64 v[90:91], v[10:11], s[18:19], v[4:5]
	s_mov_b32 s20, s10
	v_add_f64 v[97:98], v[103:104], -v[2:3]
	v_add_f64 v[99:100], v[94:95], v[12:13]
	v_fma_f64 v[84:85], v[78:79], s[10:11], v[86:87]
	v_add_f64 v[86:87], v[8:9], v[6:7]
	v_fma_f64 v[88:89], v[88:89], -0.5, v[94:95]
	v_add_f64 v[0:1], v[0:1], v[2:3]
	v_add_f64 v[2:3], v[76:77], -v[2:3]
	v_fma_f64 v[92:93], v[78:79], s[18:19], v[82:83]
	s_barrier
	v_fma_f64 v[4:5], v[80:81], s[16:17], v[84:85]
	v_add_f64 v[84:85], v[101:102], -v[76:77]
	v_fma_f64 v[86:87], v[86:87], -0.5, v[94:95]
	v_fma_f64 v[76:77], v[78:79], s[20:21], v[90:91]
	v_add_f64 v[90:91], v[101:102], -v[103:104]
	v_fma_f64 v[78:79], v[78:79], s[8:9], v[82:83]
	v_add_f64 v[82:83], v[99:100], v[8:9]
	v_add_f64 v[99:100], v[14:15], -v[6:7]
	v_fma_f64 v[92:93], v[10:11], s[10:11], v[92:93]
	v_add_f64 v[84:85], v[84:85], v[97:98]
	v_fma_f64 v[94:95], v[2:3], s[18:19], v[86:87]
	v_add_f64 v[97:98], v[12:13], -v[8:9]
	v_fma_f64 v[101:102], v[90:91], s[8:9], v[88:89]
	v_add_f64 v[8:9], v[8:9], -v[12:13]
	v_add_f64 v[12:13], v[6:7], -v[14:15]
	v_fma_f64 v[88:89], v[90:91], s[18:19], v[88:89]
	v_fma_f64 v[86:87], v[2:3], s[8:9], v[86:87]
	;; [unrolled: 1-line block ×3, first 2 shown]
	v_add_f64 v[6:7], v[82:83], v[6:7]
	v_fma_f64 v[78:79], v[90:91], s[20:21], v[94:95]
	v_add_f64 v[82:83], v[97:98], v[99:100]
	v_fma_f64 v[94:95], v[2:3], s[20:21], v[101:102]
	;; [unrolled: 2-line block ×3, first 2 shown]
	v_fma_f64 v[86:87], v[90:91], s[10:11], v[86:87]
	v_fma_f64 v[76:77], v[80:81], s[16:17], v[76:77]
	;; [unrolled: 1-line block ×4, first 2 shown]
	v_add_f64 v[2:3], v[6:7], v[14:15]
	v_fma_f64 v[6:7], v[82:83], s[16:17], v[78:79]
	v_fma_f64 v[14:15], v[97:98], s[16:17], v[94:95]
	;; [unrolled: 1-line block ×4, first 2 shown]
	ds_write_b128 v126, v[0:3]
	ds_write_b128 v126, v[4:7] offset:112
	ds_write_b128 v126, v[12:15] offset:224
	;; [unrolled: 1-line block ×4, first 2 shown]
	s_waitcnt lgkmcnt(0)
	s_barrier
	s_and_saveexec_b64 s[8:9], s[0:1]
	s_cbranch_execz .LBB0_23
; %bb.22:
	ds_read_b128 v[0:3], v122
	ds_read_b128 v[4:7], v122 offset:2240
	ds_read_b128 v[12:15], v122 offset:4480
	ds_read_b128 v[8:11], v122 offset:6720
	ds_read_b128 v[76:79], v122 offset:8960
	ds_read_b128 v[68:71], v122 offset:11200
	ds_read_b128 v[72:75], v122 offset:13440
.LBB0_23:
	s_or_b64 exec, exec, s[8:9]
	s_waitcnt lgkmcnt(5)
	v_mul_f64 v[80:81], v[30:31], v[6:7]
	v_mul_f64 v[30:31], v[30:31], v[4:5]
	s_waitcnt lgkmcnt(4)
	v_mul_f64 v[82:83], v[26:27], v[14:15]
	v_mul_f64 v[26:27], v[26:27], v[12:13]
	s_waitcnt lgkmcnt(0)
	v_mul_f64 v[84:85], v[34:35], v[74:75]
	s_mov_b32 s8, 0x37e14327
	s_mov_b32 s9, 0x3fe948f6
	;; [unrolled: 1-line block ×3, first 2 shown]
	v_fma_f64 v[4:5], v[28:29], v[4:5], v[80:81]
	v_fma_f64 v[6:7], v[28:29], v[6:7], -v[30:31]
	v_fma_f64 v[12:13], v[24:25], v[12:13], v[82:83]
	v_fma_f64 v[14:15], v[24:25], v[14:15], -v[26:27]
	v_mul_f64 v[24:25], v[34:35], v[72:73]
	v_mul_f64 v[26:27], v[22:23], v[10:11]
	;; [unrolled: 1-line block ×7, first 2 shown]
	v_fma_f64 v[38:39], v[32:33], v[72:73], v[84:85]
	v_fma_f64 v[24:25], v[32:33], v[74:75], -v[24:25]
	v_fma_f64 v[8:9], v[20:21], v[8:9], v[26:27]
	v_fma_f64 v[10:11], v[20:21], v[10:11], -v[22:23]
	;; [unrolled: 2-line block ×4, first 2 shown]
	v_add_f64 v[18:19], v[38:39], v[4:5]
	v_add_f64 v[28:29], v[24:25], v[6:7]
	v_add_f64 v[6:7], v[6:7], -v[24:25]
	v_add_f64 v[4:5], v[4:5], -v[38:39]
	v_add_f64 v[24:25], v[20:21], v[12:13]
	v_add_f64 v[30:31], v[22:23], v[14:15]
	v_add_f64 v[12:13], v[12:13], -v[20:21]
	v_add_f64 v[14:15], v[14:15], -v[22:23]
	v_add_f64 v[20:21], v[8:9], v[26:27]
	v_add_f64 v[22:23], v[10:11], v[16:17]
	v_add_f64 v[8:9], v[26:27], -v[8:9]
	v_add_f64 v[10:11], v[16:17], -v[10:11]
	v_add_f64 v[16:17], v[24:25], v[18:19]
	v_add_f64 v[26:27], v[30:31], v[28:29]
	v_add_f64 v[32:33], v[24:25], -v[18:19]
	v_add_f64 v[34:35], v[30:31], -v[28:29]
	v_add_f64 v[18:19], v[18:19], -v[20:21]
	v_add_f64 v[28:29], v[28:29], -v[22:23]
	;; [unrolled: 1-line block ×4, first 2 shown]
	v_add_f64 v[16:17], v[20:21], v[16:17]
	v_add_f64 v[20:21], v[22:23], v[26:27]
	;; [unrolled: 1-line block ×4, first 2 shown]
	v_add_f64 v[68:69], v[8:9], -v[12:13]
	v_add_f64 v[70:71], v[10:11], -v[14:15]
	v_add_f64 v[22:23], v[12:13], -v[4:5]
	v_add_f64 v[26:27], v[14:15], -v[6:7]
	v_add_f64 v[12:13], v[0:1], v[16:17]
	v_add_f64 v[14:15], v[2:3], v[20:21]
	v_mul_f64 v[0:1], v[18:19], s[8:9]
	v_mul_f64 v[2:3], v[28:29], s[8:9]
	s_mov_b32 s8, 0x36b3c0b5
	s_mov_b32 s9, 0x3fac98ee
	v_mul_f64 v[18:19], v[24:25], s[8:9]
	v_mul_f64 v[28:29], v[30:31], s[8:9]
	s_mov_b32 s11, 0x3fe11646
	v_add_f64 v[8:9], v[4:5], -v[8:9]
	v_add_f64 v[10:11], v[6:7], -v[10:11]
	v_add_f64 v[4:5], v[36:37], v[4:5]
	v_add_f64 v[6:7], v[38:39], v[6:7]
	v_mul_f64 v[36:37], v[68:69], s[10:11]
	v_mul_f64 v[38:39], v[70:71], s[10:11]
	s_mov_b32 s10, 0x429ad128
	s_mov_b32 s11, 0xbfebfeb5
	v_mul_f64 v[68:69], v[22:23], s[10:11]
	v_mul_f64 v[70:71], v[26:27], s[10:11]
	s_mov_b32 s16, 0xaaaaaaaa
	s_mov_b32 s17, 0xbff2aaaa
	v_fma_f64 v[72:73], v[16:17], s[16:17], v[12:13]
	v_fma_f64 v[74:75], v[20:21], s[16:17], v[14:15]
	;; [unrolled: 1-line block ×4, first 2 shown]
	s_mov_b32 s9, 0x3fe77f67
	s_mov_b32 s8, 0x5476071b
	v_fma_f64 v[18:19], v[32:33], s[8:9], -v[18:19]
	v_fma_f64 v[24:25], v[34:35], s[8:9], -v[28:29]
	s_mov_b32 s9, 0xbfe77f67
	v_fma_f64 v[0:1], v[32:33], s[8:9], -v[0:1]
	v_fma_f64 v[2:3], v[34:35], s[8:9], -v[2:3]
	s_mov_b32 s9, 0xbfd5d0dc
	s_mov_b32 s8, 0xb247c609
	v_fma_f64 v[34:35], v[8:9], s[8:9], v[36:37]
	v_fma_f64 v[32:33], v[10:11], s[8:9], v[38:39]
	s_mov_b32 s9, 0x3fd5d0dc
	v_fma_f64 v[28:29], v[22:23], s[10:11], -v[36:37]
	v_fma_f64 v[36:37], v[26:27], s[10:11], -v[38:39]
	;; [unrolled: 1-line block ×4, first 2 shown]
	s_mov_b32 s8, 0x37c3f68c
	s_mov_b32 s9, 0xbfdc38aa
	v_add_f64 v[16:17], v[16:17], v[72:73]
	v_add_f64 v[22:23], v[20:21], v[74:75]
	;; [unrolled: 1-line block ×6, first 2 shown]
	v_fma_f64 v[24:25], v[6:7], s[8:9], v[36:37]
	v_fma_f64 v[38:39], v[4:5], s[8:9], v[28:29]
	;; [unrolled: 1-line block ×6, first 2 shown]
	s_barrier
	v_add_f64 v[0:1], v[24:25], v[18:19]
	v_add_f64 v[2:3], v[30:31], -v[38:39]
	v_add_f64 v[4:5], v[20:21], -v[28:29]
	v_add_f64 v[6:7], v[36:37], v[26:27]
	v_add_f64 v[8:9], v[16:17], -v[32:33]
	v_add_f64 v[10:11], v[34:35], v[22:23]
	s_and_saveexec_b64 s[8:9], s[0:1]
	s_cbranch_execz .LBB0_25
; %bb.24:
	v_add_f64 v[70:71], v[22:23], -v[34:35]
	v_add_f64 v[68:69], v[32:33], v[16:17]
	v_add_f64 v[36:37], v[26:27], -v[36:37]
	v_add_f64 v[34:35], v[28:29], v[20:21]
	v_add_f64 v[30:31], v[38:39], v[30:31]
	v_add_f64 v[28:29], v[18:19], -v[24:25]
	v_mul_u32_u24_e32 v16, 0xf5, v123
	v_add_lshl_u32 v16, v16, v124, 4
	ds_write_b128 v16, v[12:15]
	ds_write_b128 v16, v[68:71] offset:560
	ds_write_b128 v16, v[34:37] offset:1120
	;; [unrolled: 1-line block ×6, first 2 shown]
.LBB0_25:
	s_or_b64 exec, exec, s[8:9]
	s_waitcnt lgkmcnt(0)
	s_barrier
	ds_read_b128 v[12:15], v122
	ds_read_b128 v[24:27], v122 offset:3920
	ds_read_b128 v[20:23], v122 offset:7840
	;; [unrolled: 1-line block ×3, first 2 shown]
	s_and_saveexec_b64 s[8:9], s[2:3]
	s_cbranch_execz .LBB0_27
; %bb.26:
	ds_read_b128 v[0:3], v122 offset:3136
	ds_read_b128 v[4:7], v122 offset:7056
	;; [unrolled: 1-line block ×4, first 2 shown]
.LBB0_27:
	s_or_b64 exec, exec, s[8:9]
	s_waitcnt lgkmcnt(2)
	v_mul_f64 v[28:29], v[62:63], v[26:27]
	v_mul_f64 v[30:31], v[62:63], v[24:25]
	s_waitcnt lgkmcnt(1)
	v_mul_f64 v[32:33], v[58:59], v[22:23]
	v_mul_f64 v[34:35], v[58:59], v[20:21]
	;; [unrolled: 3-line block ×3, first 2 shown]
	v_fma_f64 v[24:25], v[60:61], v[24:25], v[28:29]
	v_fma_f64 v[26:27], v[60:61], v[26:27], -v[30:31]
	v_fma_f64 v[20:21], v[56:57], v[20:21], v[32:33]
	v_fma_f64 v[22:23], v[56:57], v[22:23], -v[34:35]
	;; [unrolled: 2-line block ×3, first 2 shown]
	v_add_f64 v[20:21], v[12:13], -v[20:21]
	v_add_f64 v[22:23], v[14:15], -v[22:23]
	;; [unrolled: 1-line block ×4, first 2 shown]
	v_fma_f64 v[28:29], v[12:13], 2.0, -v[20:21]
	v_fma_f64 v[30:31], v[14:15], 2.0, -v[22:23]
	;; [unrolled: 1-line block ×4, first 2 shown]
	v_add_f64 v[12:13], v[20:21], v[18:19]
	v_add_f64 v[14:15], v[22:23], -v[16:17]
	v_add_f64 v[16:17], v[28:29], -v[24:25]
	v_add_f64 v[18:19], v[30:31], -v[26:27]
	v_fma_f64 v[20:21], v[20:21], 2.0, -v[12:13]
	v_fma_f64 v[22:23], v[22:23], 2.0, -v[14:15]
	;; [unrolled: 1-line block ×4, first 2 shown]
	ds_write_b128 v122, v[20:23] offset:3920
	ds_write_b128 v122, v[16:19] offset:7840
	ds_write_b128 v122, v[24:27]
	ds_write_b128 v122, v[12:15] offset:11760
	s_and_saveexec_b64 s[8:9], s[2:3]
	s_cbranch_execz .LBB0_29
; %bb.28:
	v_mul_f64 v[12:13], v[46:47], v[8:9]
	v_mul_f64 v[14:15], v[50:51], v[6:7]
	v_mul_f64 v[16:17], v[50:51], v[4:5]
	v_mul_f64 v[18:19], v[42:43], v[64:65]
	v_mul_f64 v[20:21], v[46:47], v[10:11]
	v_mul_f64 v[22:23], v[42:43], v[66:67]
	v_fma_f64 v[10:11], v[44:45], v[10:11], -v[12:13]
	v_fma_f64 v[4:5], v[48:49], v[4:5], v[14:15]
	v_fma_f64 v[6:7], v[48:49], v[6:7], -v[16:17]
	v_fma_f64 v[12:13], v[40:41], v[66:67], -v[18:19]
	v_fma_f64 v[8:9], v[44:45], v[8:9], v[20:21]
	v_fma_f64 v[14:15], v[40:41], v[64:65], v[22:23]
	v_add_f64 v[10:11], v[2:3], -v[10:11]
	v_add_f64 v[12:13], v[6:7], -v[12:13]
	;; [unrolled: 1-line block ×4, first 2 shown]
	v_fma_f64 v[16:17], v[2:3], 2.0, -v[10:11]
	v_fma_f64 v[6:7], v[6:7], 2.0, -v[12:13]
	;; [unrolled: 1-line block ×4, first 2 shown]
	v_add_f64 v[2:3], v[10:11], -v[14:15]
	v_add_f64 v[0:1], v[8:9], v[12:13]
	v_add_f64 v[6:7], v[16:17], -v[6:7]
	v_add_f64 v[4:5], v[18:19], -v[4:5]
	v_fma_f64 v[10:11], v[10:11], 2.0, -v[2:3]
	v_fma_f64 v[8:9], v[8:9], 2.0, -v[0:1]
	;; [unrolled: 1-line block ×4, first 2 shown]
	ds_write_b128 v122, v[8:11] offset:7056
	ds_write_b128 v122, v[4:7] offset:10976
	;; [unrolled: 1-line block ×4, first 2 shown]
.LBB0_29:
	s_or_b64 exec, exec, s[8:9]
	s_waitcnt lgkmcnt(0)
	s_barrier
	s_and_b64 exec, exec, s[0:1]
	s_cbranch_execz .LBB0_31
; %bb.30:
	v_mov_b32_e32 v0, s15
	v_add_co_u32_e32 v20, vcc, s14, v122
	v_addc_co_u32_e32 v21, vcc, 0, v0, vcc
	s_movk_i32 s0, 0x1000
	global_load_dwordx4 v[0:3], v122, s[14:15]
	global_load_dwordx4 v[4:7], v122, s[14:15] offset:2240
	v_add_co_u32_e32 v16, vcc, s0, v20
	v_addc_co_u32_e32 v17, vcc, 0, v21, vcc
	global_load_dwordx4 v[8:11], v[16:17], off offset:384
	global_load_dwordx4 v[12:15], v[16:17], off offset:2624
	s_movk_i32 s0, 0x2000
	v_add_co_u32_e32 v28, vcc, s0, v20
	v_addc_co_u32_e32 v29, vcc, 0, v21, vcc
	global_load_dwordx4 v[16:19], v[28:29], off offset:768
	s_movk_i32 s2, 0x3000
	v_add_co_u32_e32 v30, vcc, s2, v20
	v_addc_co_u32_e32 v31, vcc, 0, v21, vcc
	global_load_dwordx4 v[20:23], v[28:29], off offset:3008
	global_load_dwordx4 v[24:27], v[30:31], off offset:1152
	v_mad_u64_u32 v[56:57], s[0:1], s6, v96, 0
	v_mad_u64_u32 v[58:59], s[2:3], s4, v121, 0
	s_mul_i32 s2, s5, 0x8c0
	s_mul_hi_u32 s3, s4, 0x8c0
	s_add_i32 s6, s3, s2
	v_mad_u64_u32 v[60:61], s[2:3], s7, v96, v[57:58]
	ds_read_b128 v[28:31], v122
	ds_read_b128 v[32:35], v122 offset:2240
	v_mov_b32_e32 v63, s13
	v_mad_u64_u32 v[61:62], s[2:3], s5, v121, v[59:60]
	v_mov_b32_e32 v57, v60
	v_lshlrev_b64 v[56:57], 4, v[56:57]
	v_mov_b32_e32 v59, v61
	v_lshlrev_b64 v[58:59], 4, v[58:59]
	v_add_co_u32_e32 v56, vcc, s12, v56
	v_addc_co_u32_e32 v57, vcc, v63, v57, vcc
	v_add_co_u32_e32 v56, vcc, v56, v58
	s_mulk_i32 s4, 0x8c0
	v_addc_co_u32_e32 v57, vcc, v57, v59, vcc
	ds_read_b128 v[36:39], v122 offset:4480
	ds_read_b128 v[40:43], v122 offset:6720
	;; [unrolled: 1-line block ×5, first 2 shown]
	v_mov_b32_e32 v64, s6
	v_add_co_u32_e32 v58, vcc, s4, v56
	v_addc_co_u32_e32 v59, vcc, v57, v64, vcc
	s_mov_b32 s0, 0xec259dc8
	s_mov_b32 s1, 0x3f50b7e6
	v_mov_b32_e32 v70, s6
	v_mov_b32_e32 v71, s6
	s_waitcnt vmcnt(6) lgkmcnt(6)
	v_mul_f64 v[60:61], v[30:31], v[2:3]
	v_mul_f64 v[2:3], v[28:29], v[2:3]
	s_waitcnt vmcnt(5) lgkmcnt(5)
	v_mul_f64 v[62:63], v[34:35], v[6:7]
	v_mul_f64 v[6:7], v[32:33], v[6:7]
	;; [unrolled: 3-line block ×3, first 2 shown]
	s_waitcnt vmcnt(3) lgkmcnt(3)
	v_mul_f64 v[66:67], v[42:43], v[14:15]
	v_fma_f64 v[28:29], v[28:29], v[0:1], v[60:61]
	v_fma_f64 v[2:3], v[0:1], v[30:31], -v[2:3]
	v_fma_f64 v[30:31], v[32:33], v[4:5], v[62:63]
	v_fma_f64 v[6:7], v[4:5], v[34:35], -v[6:7]
	v_mul_f64 v[14:15], v[40:41], v[14:15]
	v_fma_f64 v[32:33], v[36:37], v[8:9], v[64:65]
	v_fma_f64 v[10:11], v[8:9], v[38:39], -v[10:11]
	s_waitcnt vmcnt(2) lgkmcnt(2)
	v_mul_f64 v[68:69], v[46:47], v[18:19]
	v_mul_f64 v[18:19], v[44:45], v[18:19]
	;; [unrolled: 1-line block ×6, first 2 shown]
	v_fma_f64 v[34:35], v[40:41], v[12:13], v[66:67]
	v_fma_f64 v[14:15], v[12:13], v[42:43], -v[14:15]
	v_mul_f64 v[8:9], v[32:33], s[0:1]
	v_mul_f64 v[10:11], v[10:11], s[0:1]
	v_add_co_u32_e32 v28, vcc, s4, v58
	v_addc_co_u32_e32 v29, vcc, v59, v70, vcc
	v_fma_f64 v[30:31], v[44:45], v[16:17], v[68:69]
	v_fma_f64 v[16:17], v[16:17], v[46:47], -v[18:19]
	global_store_dwordx4 v[56:57], v[0:3], off
	global_store_dwordx4 v[58:59], v[4:7], off
	;; [unrolled: 1-line block ×3, first 2 shown]
	s_waitcnt vmcnt(4) lgkmcnt(1)
	v_mul_f64 v[6:7], v[50:51], v[22:23]
	v_mul_f64 v[8:9], v[48:49], v[22:23]
	;; [unrolled: 1-line block ×4, first 2 shown]
	s_waitcnt vmcnt(3) lgkmcnt(0)
	v_mul_f64 v[10:11], v[54:55], v[26:27]
	v_mul_f64 v[18:19], v[52:53], v[26:27]
	v_add_co_u32_e32 v4, vcc, s4, v28
	v_mul_f64 v[0:1], v[30:31], s[0:1]
	v_mul_f64 v[2:3], v[16:17], s[0:1]
	v_fma_f64 v[6:7], v[48:49], v[20:21], v[6:7]
	v_fma_f64 v[8:9], v[20:21], v[50:51], -v[8:9]
	v_addc_co_u32_e32 v5, vcc, v29, v71, vcc
	global_store_dwordx4 v[4:5], v[12:15], off
	v_fma_f64 v[10:11], v[52:53], v[24:25], v[10:11]
	v_fma_f64 v[12:13], v[24:25], v[54:55], -v[18:19]
	v_mov_b32_e32 v15, s6
	v_add_co_u32_e32 v14, vcc, s4, v4
	v_addc_co_u32_e32 v15, vcc, v5, v15, vcc
	global_store_dwordx4 v[14:15], v[0:3], off
	v_mul_f64 v[4:5], v[10:11], s[0:1]
	v_mul_f64 v[0:1], v[6:7], s[0:1]
	;; [unrolled: 1-line block ×4, first 2 shown]
	v_mov_b32_e32 v9, s6
	v_add_co_u32_e32 v8, vcc, s4, v14
	v_addc_co_u32_e32 v9, vcc, v15, v9, vcc
	global_store_dwordx4 v[8:9], v[0:3], off
	s_nop 0
	v_mov_b32_e32 v1, s6
	v_add_co_u32_e32 v0, vcc, s4, v8
	v_addc_co_u32_e32 v1, vcc, v9, v1, vcc
	global_store_dwordx4 v[0:1], v[4:7], off
.LBB0_31:
	s_endpgm
	.section	.rodata,"a",@progbits
	.p2align	6, 0x0
	.amdhsa_kernel bluestein_single_fwd_len980_dim1_dp_op_CI_CI
		.amdhsa_group_segment_fixed_size 15680
		.amdhsa_private_segment_fixed_size 0
		.amdhsa_kernarg_size 104
		.amdhsa_user_sgpr_count 6
		.amdhsa_user_sgpr_private_segment_buffer 1
		.amdhsa_user_sgpr_dispatch_ptr 0
		.amdhsa_user_sgpr_queue_ptr 0
		.amdhsa_user_sgpr_kernarg_segment_ptr 1
		.amdhsa_user_sgpr_dispatch_id 0
		.amdhsa_user_sgpr_flat_scratch_init 0
		.amdhsa_user_sgpr_private_segment_size 0
		.amdhsa_uses_dynamic_stack 0
		.amdhsa_system_sgpr_private_segment_wavefront_offset 0
		.amdhsa_system_sgpr_workgroup_id_x 1
		.amdhsa_system_sgpr_workgroup_id_y 0
		.amdhsa_system_sgpr_workgroup_id_z 0
		.amdhsa_system_sgpr_workgroup_info 0
		.amdhsa_system_vgpr_workitem_id 0
		.amdhsa_next_free_vgpr 129
		.amdhsa_next_free_sgpr 28
		.amdhsa_reserve_vcc 1
		.amdhsa_reserve_flat_scratch 0
		.amdhsa_float_round_mode_32 0
		.amdhsa_float_round_mode_16_64 0
		.amdhsa_float_denorm_mode_32 3
		.amdhsa_float_denorm_mode_16_64 3
		.amdhsa_dx10_clamp 1
		.amdhsa_ieee_mode 1
		.amdhsa_fp16_overflow 0
		.amdhsa_exception_fp_ieee_invalid_op 0
		.amdhsa_exception_fp_denorm_src 0
		.amdhsa_exception_fp_ieee_div_zero 0
		.amdhsa_exception_fp_ieee_overflow 0
		.amdhsa_exception_fp_ieee_underflow 0
		.amdhsa_exception_fp_ieee_inexact 0
		.amdhsa_exception_int_div_zero 0
	.end_amdhsa_kernel
	.text
.Lfunc_end0:
	.size	bluestein_single_fwd_len980_dim1_dp_op_CI_CI, .Lfunc_end0-bluestein_single_fwd_len980_dim1_dp_op_CI_CI
                                        ; -- End function
	.section	.AMDGPU.csdata,"",@progbits
; Kernel info:
; codeLenInByte = 9420
; NumSgprs: 32
; NumVgprs: 129
; ScratchSize: 0
; MemoryBound: 0
; FloatMode: 240
; IeeeMode: 1
; LDSByteSize: 15680 bytes/workgroup (compile time only)
; SGPRBlocks: 3
; VGPRBlocks: 32
; NumSGPRsForWavesPerEU: 32
; NumVGPRsForWavesPerEU: 129
; Occupancy: 1
; WaveLimiterHint : 1
; COMPUTE_PGM_RSRC2:SCRATCH_EN: 0
; COMPUTE_PGM_RSRC2:USER_SGPR: 6
; COMPUTE_PGM_RSRC2:TRAP_HANDLER: 0
; COMPUTE_PGM_RSRC2:TGID_X_EN: 1
; COMPUTE_PGM_RSRC2:TGID_Y_EN: 0
; COMPUTE_PGM_RSRC2:TGID_Z_EN: 0
; COMPUTE_PGM_RSRC2:TIDIG_COMP_CNT: 0
	.type	__hip_cuid_588d29e99c89ff7e,@object ; @__hip_cuid_588d29e99c89ff7e
	.section	.bss,"aw",@nobits
	.globl	__hip_cuid_588d29e99c89ff7e
__hip_cuid_588d29e99c89ff7e:
	.byte	0                               ; 0x0
	.size	__hip_cuid_588d29e99c89ff7e, 1

	.ident	"AMD clang version 19.0.0git (https://github.com/RadeonOpenCompute/llvm-project roc-6.4.0 25133 c7fe45cf4b819c5991fe208aaa96edf142730f1d)"
	.section	".note.GNU-stack","",@progbits
	.addrsig
	.addrsig_sym __hip_cuid_588d29e99c89ff7e
	.amdgpu_metadata
---
amdhsa.kernels:
  - .args:
      - .actual_access:  read_only
        .address_space:  global
        .offset:         0
        .size:           8
        .value_kind:     global_buffer
      - .actual_access:  read_only
        .address_space:  global
        .offset:         8
        .size:           8
        .value_kind:     global_buffer
      - .actual_access:  read_only
        .address_space:  global
        .offset:         16
        .size:           8
        .value_kind:     global_buffer
      - .actual_access:  read_only
        .address_space:  global
        .offset:         24
        .size:           8
        .value_kind:     global_buffer
      - .actual_access:  read_only
        .address_space:  global
        .offset:         32
        .size:           8
        .value_kind:     global_buffer
      - .offset:         40
        .size:           8
        .value_kind:     by_value
      - .address_space:  global
        .offset:         48
        .size:           8
        .value_kind:     global_buffer
      - .address_space:  global
        .offset:         56
        .size:           8
        .value_kind:     global_buffer
      - .address_space:  global
        .offset:         64
        .size:           8
        .value_kind:     global_buffer
      - .address_space:  global
        .offset:         72
        .size:           8
        .value_kind:     global_buffer
      - .offset:         80
        .size:           4
        .value_kind:     by_value
      - .address_space:  global
        .offset:         88
        .size:           8
        .value_kind:     global_buffer
      - .address_space:  global
        .offset:         96
        .size:           8
        .value_kind:     global_buffer
    .group_segment_fixed_size: 15680
    .kernarg_segment_align: 8
    .kernarg_segment_size: 104
    .language:       OpenCL C
    .language_version:
      - 2
      - 0
    .max_flat_workgroup_size: 196
    .name:           bluestein_single_fwd_len980_dim1_dp_op_CI_CI
    .private_segment_fixed_size: 0
    .sgpr_count:     32
    .sgpr_spill_count: 0
    .symbol:         bluestein_single_fwd_len980_dim1_dp_op_CI_CI.kd
    .uniform_work_group_size: 1
    .uses_dynamic_stack: false
    .vgpr_count:     129
    .vgpr_spill_count: 0
    .wavefront_size: 64
amdhsa.target:   amdgcn-amd-amdhsa--gfx906
amdhsa.version:
  - 1
  - 2
...

	.end_amdgpu_metadata
